;; amdgpu-corpus repo=ROCm/rocFFT kind=compiled arch=gfx950 opt=O3
	.text
	.amdgcn_target "amdgcn-amd-amdhsa--gfx950"
	.amdhsa_code_object_version 6
	.protected	fft_rtc_fwd_len455_factors_13_5_7_wgs_195_tpt_65_sp_op_CI_CI_unitstride_sbrr_dirReg ; -- Begin function fft_rtc_fwd_len455_factors_13_5_7_wgs_195_tpt_65_sp_op_CI_CI_unitstride_sbrr_dirReg
	.globl	fft_rtc_fwd_len455_factors_13_5_7_wgs_195_tpt_65_sp_op_CI_CI_unitstride_sbrr_dirReg
	.p2align	8
	.type	fft_rtc_fwd_len455_factors_13_5_7_wgs_195_tpt_65_sp_op_CI_CI_unitstride_sbrr_dirReg,@function
fft_rtc_fwd_len455_factors_13_5_7_wgs_195_tpt_65_sp_op_CI_CI_unitstride_sbrr_dirReg: ; @fft_rtc_fwd_len455_factors_13_5_7_wgs_195_tpt_65_sp_op_CI_CI_unitstride_sbrr_dirReg
; %bb.0:
	s_load_dwordx4 s[4:7], s[0:1], 0x58
	s_load_dwordx4 s[8:11], s[0:1], 0x0
	;; [unrolled: 1-line block ×3, first 2 shown]
	v_mul_u32_u24_e32 v1, 0x3f1, v0
	v_lshrrev_b32_e32 v2, 16, v1
	v_mad_u64_u32 v[2:3], s[2:3], s2, 3, v[2:3]
	v_mov_b32_e32 v6, 0
	v_mov_b32_e32 v3, v6
	s_waitcnt lgkmcnt(0)
	v_cmp_lt_u64_e64 s[2:3], s[10:11], 2
	v_mov_b64_e32 v[4:5], 0
	s_and_b64 vcc, exec, s[2:3]
	v_mov_b64_e32 v[8:9], v[4:5]
	v_mov_b64_e32 v[10:11], v[2:3]
	s_cbranch_vccnz .LBB0_8
; %bb.1:
	s_load_dwordx2 s[2:3], s[0:1], 0x10
	s_add_u32 s16, s14, 8
	s_addc_u32 s17, s15, 0
	s_add_u32 s18, s12, 8
	s_addc_u32 s19, s13, 0
	s_waitcnt lgkmcnt(0)
	s_add_u32 s20, s2, 8
	v_mov_b64_e32 v[4:5], 0
	s_addc_u32 s21, s3, 0
	s_mov_b64 s[22:23], 1
	v_mov_b64_e32 v[8:9], v[4:5]
	v_mov_b64_e32 v[12:13], v[2:3]
.LBB0_2:                                ; =>This Inner Loop Header: Depth=1
	s_load_dwordx2 s[24:25], s[20:21], 0x0
                                        ; implicit-def: $vgpr10_vgpr11
	s_waitcnt lgkmcnt(0)
	v_or_b32_e32 v7, s25, v13
	v_cmp_ne_u64_e32 vcc, 0, v[6:7]
	s_and_saveexec_b64 s[2:3], vcc
	s_xor_b64 s[26:27], exec, s[2:3]
	s_cbranch_execz .LBB0_4
; %bb.3:                                ;   in Loop: Header=BB0_2 Depth=1
	v_cvt_f32_u32_e32 v1, s24
	v_cvt_f32_u32_e32 v3, s25
	s_sub_u32 s2, 0, s24
	s_subb_u32 s3, 0, s25
	v_fmac_f32_e32 v1, 0x4f800000, v3
	v_rcp_f32_e32 v1, v1
	s_nop 0
	v_mul_f32_e32 v1, 0x5f7ffffc, v1
	v_mul_f32_e32 v3, 0x2f800000, v1
	v_trunc_f32_e32 v3, v3
	v_fmac_f32_e32 v1, 0xcf800000, v3
	v_cvt_u32_f32_e32 v3, v3
	v_cvt_u32_f32_e32 v1, v1
	v_mul_lo_u32 v7, s2, v3
	v_mul_hi_u32 v10, s2, v1
	v_mul_lo_u32 v11, s3, v1
	v_add_u32_e32 v7, v10, v7
	v_mul_lo_u32 v16, s2, v1
	v_add_u32_e32 v7, v7, v11
	v_mul_hi_u32 v10, v1, v16
	v_mul_hi_u32 v15, v1, v7
	v_mul_lo_u32 v14, v1, v7
	v_mov_b32_e32 v11, v6
	v_lshl_add_u64 v[10:11], v[10:11], 0, v[14:15]
	v_mul_hi_u32 v15, v3, v16
	v_mul_lo_u32 v16, v3, v16
	v_add_co_u32_e32 v10, vcc, v10, v16
	v_mul_hi_u32 v14, v3, v7
	s_nop 0
	v_addc_co_u32_e32 v10, vcc, v11, v15, vcc
	v_mov_b32_e32 v11, v6
	s_nop 0
	v_addc_co_u32_e32 v15, vcc, 0, v14, vcc
	v_mul_lo_u32 v14, v3, v7
	v_lshl_add_u64 v[10:11], v[10:11], 0, v[14:15]
	v_add_co_u32_e32 v1, vcc, v1, v10
	v_mul_hi_u32 v10, s2, v1
	s_nop 0
	v_addc_co_u32_e32 v3, vcc, v3, v11, vcc
	v_mul_lo_u32 v7, s2, v3
	v_add_u32_e32 v7, v10, v7
	v_mul_lo_u32 v10, s3, v1
	v_add_u32_e32 v7, v7, v10
	v_mul_lo_u32 v14, s2, v1
	v_mul_hi_u32 v17, v3, v14
	v_mul_lo_u32 v18, v3, v14
	v_mul_hi_u32 v11, v1, v7
	;; [unrolled: 2-line block ×3, first 2 shown]
	v_mov_b32_e32 v15, v6
	v_lshl_add_u64 v[10:11], v[14:15], 0, v[10:11]
	v_add_co_u32_e32 v10, vcc, v10, v18
	v_mul_hi_u32 v16, v3, v7
	s_nop 0
	v_addc_co_u32_e32 v10, vcc, v11, v17, vcc
	v_mul_lo_u32 v14, v3, v7
	s_nop 0
	v_addc_co_u32_e32 v15, vcc, 0, v16, vcc
	v_mov_b32_e32 v11, v6
	v_lshl_add_u64 v[10:11], v[10:11], 0, v[14:15]
	v_add_co_u32_e32 v1, vcc, v1, v10
	v_mul_hi_u32 v14, v12, v1
	s_nop 0
	v_addc_co_u32_e32 v3, vcc, v3, v11, vcc
	v_mad_u64_u32 v[10:11], s[2:3], v12, v3, 0
	v_mov_b32_e32 v15, v6
	v_lshl_add_u64 v[10:11], v[14:15], 0, v[10:11]
	v_mad_u64_u32 v[16:17], s[2:3], v13, v1, 0
	v_add_co_u32_e32 v1, vcc, v10, v16
	v_mad_u64_u32 v[14:15], s[2:3], v13, v3, 0
	s_nop 0
	v_addc_co_u32_e32 v10, vcc, v11, v17, vcc
	v_mov_b32_e32 v11, v6
	s_nop 0
	v_addc_co_u32_e32 v15, vcc, 0, v15, vcc
	v_lshl_add_u64 v[10:11], v[10:11], 0, v[14:15]
	v_mul_lo_u32 v1, s25, v10
	v_mul_lo_u32 v3, s24, v11
	v_mad_u64_u32 v[14:15], s[2:3], s24, v10, 0
	v_add3_u32 v1, v15, v3, v1
	v_sub_u32_e32 v3, v13, v1
	v_mov_b32_e32 v7, s25
	v_sub_co_u32_e32 v18, vcc, v12, v14
	v_lshl_add_u64 v[16:17], v[10:11], 0, 1
	s_nop 0
	v_subb_co_u32_e64 v3, s[2:3], v3, v7, vcc
	v_subrev_co_u32_e64 v7, s[2:3], s24, v18
	v_subb_co_u32_e32 v1, vcc, v13, v1, vcc
	s_nop 0
	v_subbrev_co_u32_e64 v3, s[2:3], 0, v3, s[2:3]
	v_cmp_le_u32_e64 s[2:3], s25, v3
	v_cmp_le_u32_e32 vcc, s25, v1
	s_nop 0
	v_cndmask_b32_e64 v14, 0, -1, s[2:3]
	v_cmp_le_u32_e64 s[2:3], s24, v7
	s_nop 1
	v_cndmask_b32_e64 v7, 0, -1, s[2:3]
	v_cmp_eq_u32_e64 s[2:3], s25, v3
	s_nop 1
	v_cndmask_b32_e64 v3, v14, v7, s[2:3]
	v_lshl_add_u64 v[14:15], v[10:11], 0, 2
	v_cmp_ne_u32_e64 s[2:3], 0, v3
	v_cndmask_b32_e64 v7, 0, -1, vcc
	v_cmp_le_u32_e32 vcc, s24, v18
	v_cndmask_b32_e64 v3, v17, v15, s[2:3]
	s_nop 0
	v_cndmask_b32_e64 v15, 0, -1, vcc
	v_cmp_eq_u32_e32 vcc, s25, v1
	s_nop 1
	v_cndmask_b32_e32 v1, v7, v15, vcc
	v_cmp_ne_u32_e32 vcc, 0, v1
	v_cndmask_b32_e64 v1, v16, v14, s[2:3]
	s_nop 0
	v_cndmask_b32_e32 v11, v11, v3, vcc
	v_cndmask_b32_e32 v10, v10, v1, vcc
.LBB0_4:                                ;   in Loop: Header=BB0_2 Depth=1
	s_andn2_saveexec_b64 s[2:3], s[26:27]
	s_cbranch_execz .LBB0_6
; %bb.5:                                ;   in Loop: Header=BB0_2 Depth=1
	v_cvt_f32_u32_e32 v1, s24
	s_sub_i32 s26, 0, s24
	v_mov_b32_e32 v11, v6
	v_rcp_iflag_f32_e32 v1, v1
	s_nop 0
	v_mul_f32_e32 v1, 0x4f7ffffe, v1
	v_cvt_u32_f32_e32 v1, v1
	v_mul_lo_u32 v3, s26, v1
	v_mul_hi_u32 v3, v1, v3
	v_add_u32_e32 v1, v1, v3
	v_mul_hi_u32 v1, v12, v1
	v_mul_lo_u32 v3, v1, s24
	v_sub_u32_e32 v3, v12, v3
	v_add_u32_e32 v7, 1, v1
	v_subrev_u32_e32 v10, s24, v3
	v_cmp_le_u32_e32 vcc, s24, v3
	s_nop 1
	v_cndmask_b32_e32 v3, v3, v10, vcc
	v_cndmask_b32_e32 v1, v1, v7, vcc
	v_add_u32_e32 v7, 1, v1
	v_cmp_le_u32_e32 vcc, s24, v3
	s_nop 1
	v_cndmask_b32_e32 v10, v1, v7, vcc
.LBB0_6:                                ;   in Loop: Header=BB0_2 Depth=1
	s_or_b64 exec, exec, s[2:3]
	v_mad_u64_u32 v[14:15], s[2:3], v10, s24, 0
	s_load_dwordx2 s[2:3], s[18:19], 0x0
	s_add_u32 s22, s22, 1
	v_mul_lo_u32 v1, v11, s24
	v_mul_lo_u32 v3, v10, s25
	s_load_dwordx2 s[24:25], s[16:17], 0x0
	s_addc_u32 s23, s23, 0
	v_add3_u32 v1, v15, v3, v1
	v_sub_co_u32_e32 v3, vcc, v12, v14
	s_add_u32 s16, s16, 8
	s_nop 0
	v_subb_co_u32_e32 v1, vcc, v13, v1, vcc
	s_addc_u32 s17, s17, 0
	s_waitcnt lgkmcnt(0)
	v_mul_lo_u32 v7, s2, v1
	v_mul_lo_u32 v12, s3, v3
	v_mad_u64_u32 v[4:5], s[2:3], s2, v3, v[4:5]
	s_add_u32 s18, s18, 8
	v_add3_u32 v5, v12, v5, v7
	s_addc_u32 s19, s19, 0
	v_mov_b64_e32 v[12:13], s[10:11]
	v_mul_lo_u32 v1, s24, v1
	v_mul_lo_u32 v7, s25, v3
	v_mad_u64_u32 v[8:9], s[2:3], s24, v3, v[8:9]
	s_add_u32 s20, s20, 8
	v_cmp_ge_u64_e32 vcc, s[22:23], v[12:13]
	v_add3_u32 v9, v7, v9, v1
	s_addc_u32 s21, s21, 0
	s_cbranch_vccnz .LBB0_8
; %bb.7:                                ;   in Loop: Header=BB0_2 Depth=1
	v_mov_b64_e32 v[12:13], v[10:11]
	s_branch .LBB0_2
.LBB0_8:
	s_load_dwordx2 s[0:1], s[0:1], 0x28
	s_lshl_b64 s[16:17], s[10:11], 3
	s_add_u32 s2, s14, s16
	s_addc_u32 s3, s15, s17
	s_load_dwordx2 s[2:3], s[2:3], 0x0
	s_waitcnt lgkmcnt(0)
	v_cmp_gt_u64_e32 vcc, s[0:1], v[10:11]
	s_mov_b32 s0, 0x3f03f04
	v_mul_hi_u32 v1, v0, s0
	v_mul_u32_u24_e32 v1, 0x41, v1
	v_sub_u32_e32 v12, v0, v1
	v_mov_b32_e32 v0, 0
	v_mov_b32_e32 v14, 0
	;; [unrolled: 1-line block ×3, first 2 shown]
                                        ; implicit-def: $vgpr34
                                        ; implicit-def: $vgpr36
                                        ; implicit-def: $vgpr26
                                        ; implicit-def: $vgpr28
                                        ; implicit-def: $vgpr38
                                        ; implicit-def: $vgpr40
                                        ; implicit-def: $vgpr42
                                        ; implicit-def: $vgpr44
                                        ; implicit-def: $vgpr30
                                        ; implicit-def: $vgpr48
                                        ; implicit-def: $vgpr32
                                        ; implicit-def: $vgpr46
	s_and_saveexec_b64 s[10:11], vcc
	s_cbranch_execz .LBB0_12
; %bb.9:
	v_cmp_gt_u32_e64 s[0:1], 35, v12
	v_mov_b32_e32 v1, 0
	v_mov_b32_e32 v0, 0
                                        ; implicit-def: $vgpr47
                                        ; implicit-def: $vgpr33
                                        ; implicit-def: $vgpr49
                                        ; implicit-def: $vgpr31
                                        ; implicit-def: $vgpr45
                                        ; implicit-def: $vgpr43
                                        ; implicit-def: $vgpr41
                                        ; implicit-def: $vgpr39
                                        ; implicit-def: $vgpr29
                                        ; implicit-def: $vgpr27
                                        ; implicit-def: $vgpr37
                                        ; implicit-def: $vgpr35
	s_and_saveexec_b64 s[14:15], s[0:1]
	s_cbranch_execz .LBB0_11
; %bb.10:
	s_add_u32 s0, s12, s16
	s_addc_u32 s1, s13, s17
	s_load_dwordx2 s[0:1], s[0:1], 0x0
	v_mov_b32_e32 v13, 0
	s_waitcnt lgkmcnt(0)
	v_mul_lo_u32 v3, s1, v10
	v_mul_lo_u32 v6, s0, v11
	v_mad_u64_u32 v[0:1], s[0:1], s0, v10, 0
	v_add3_u32 v1, v1, v6, v3
	v_lshl_add_u64 v[0:1], v[0:1], 3, s[4:5]
	v_lshl_add_u64 v[0:1], v[4:5], 3, v[0:1]
	;; [unrolled: 1-line block ×3, first 2 shown]
	global_load_dwordx2 v[0:1], v[4:5], off
	global_load_dwordx2 v[46:47], v[4:5], off offset:280
	global_load_dwordx2 v[32:33], v[4:5], off offset:560
	;; [unrolled: 1-line block ×12, first 2 shown]
.LBB0_11:
	s_or_b64 exec, exec, s[14:15]
	v_mov_b32_e32 v14, v12
.LBB0_12:
	s_or_b64 exec, exec, s[10:11]
	s_mov_b32 s0, 0xaaaaaaab
	v_mul_hi_u32 v3, v2, s0
	v_lshrrev_b32_e32 v3, 1, v3
	v_lshl_add_u32 v3, v3, 1, v3
	s_mov_b32 s4, 0xbf6f5d39
	v_sub_u32_e32 v13, v2, v3
	s_waitcnt vmcnt(0)
	v_pk_add_f32 v[22:23], v[46:47], v[38:39] neg_lo:[0,1] neg_hi:[0,1]
	v_pk_add_f32 v[2:3], v[46:47], v[38:39]
	s_mov_b32 s5, 0xbeb58ec6
	s_mov_b32 s16, 0x3f29c268
	v_mov_b32_e32 v66, v2
	v_mov_b32_e32 v67, v22
	v_pk_add_f32 v[24:25], v[32:33], v[40:41] neg_lo:[0,1] neg_hi:[0,1]
	v_pk_add_f32 v[4:5], v[32:33], v[40:41]
	s_mov_b32 s24, s5
	s_mov_b32 s25, s4
	;; [unrolled: 1-line block ×3, first 2 shown]
	v_mov_b32_e32 v2, v23
	v_mov_b32_e32 v64, v4
	;; [unrolled: 1-line block ×3, first 2 shown]
	v_pk_mul_f32 v[50:51], v[66:67], s[24:25]
	s_mov_b32 s0, s17
	s_mov_b32 s1, s16
	v_mov_b32_e32 v4, v25
	v_pk_fma_f32 v[6:7], v[2:3], s[4:5], v[50:51] neg_lo:[0,0,1] neg_hi:[0,0,1]
	v_pk_fma_f32 v[52:53], v[2:3], s[4:5], v[50:51]
	v_pk_mul_f32 v[54:55], v[64:65], s[0:1]
	s_mov_b32 s18, 0x3eedf032
	v_pk_add_f32 v[92:93], v[30:31], v[42:43] neg_lo:[0,1] neg_hi:[0,1]
	v_pk_add_f32 v[18:19], v[30:31], v[42:43]
	v_mov_b32_e32 v6, v52
	v_pk_fma_f32 v[16:17], v[4:5], s[16:17], v[54:55] neg_lo:[0,0,1] neg_hi:[0,0,1]
	v_pk_fma_f32 v[56:57], v[4:5], s[16:17], v[54:55]
	s_mov_b32 s19, 0x3f62ad3f
	v_mov_b32_e32 v62, v18
	v_mov_b32_e32 v63, v92
	v_pk_add_f32 v[6:7], v[0:1], v[6:7]
	v_mov_b32_e32 v16, v56
	s_mov_b32 s0, s19
	s_mov_b32 s1, s18
	v_pk_add_f32 v[16:17], v[6:7], v[16:17]
	v_mov_b32_e32 v6, v93
	v_mov_b32_e32 v7, v19
	v_pk_mul_f32 v[58:59], v[62:63], s[0:1]
	s_mov_b32 s10, 0xbf7e222b
	v_pk_fma_f32 v[20:21], v[6:7], s[18:19], v[58:59] neg_lo:[0,0,1] neg_hi:[0,0,1]
	v_pk_fma_f32 v[60:61], v[6:7], s[18:19], v[58:59]
	v_pk_add_f32 v[82:83], v[48:49], v[44:45] neg_lo:[0,1] neg_hi:[0,1]
	v_mov_b32_e32 v20, v60
	v_pk_add_f32 v[16:17], v[16:17], v[20:21]
	s_mov_b32 s22, 0x3df6dbef
	v_pk_add_f32 v[80:81], v[48:49], v[44:45]
	v_pk_mul_f32 v[20:21], v[82:83], s[10:11] op_sel_hi:[1,0]
	s_mov_b32 s12, 0xbe750f2a
	v_pk_fma_f32 v[68:69], v[80:81], s[22:23], v[20:21] op_sel:[0,0,1] op_sel_hi:[1,0,0] neg_lo:[0,0,1] neg_hi:[0,0,1]
	v_pk_fma_f32 v[70:71], v[80:81], s[22:23], v[20:21] op_sel:[0,0,1] op_sel_hi:[1,0,0]
	v_mov_b32_e32 v21, v69
	v_mov_b32_e32 v20, v70
	s_mov_b32 s13, 0xbf788fa5
	s_mov_b32 s36, 0x3e750f2a
	v_pk_add_f32 v[86:87], v[34:35], v[36:37] neg_lo:[0,1] neg_hi:[0,1]
	v_pk_add_f32 v[16:17], v[16:17], v[20:21]
	s_mov_b32 s34, s13
	v_pk_add_f32 v[84:85], v[34:35], v[36:37]
	v_pk_mul_f32 v[20:21], v[86:87], s[36:37] op_sel_hi:[1,0]
	s_mov_b32 s26, 0x3f52af12
	v_pk_fma_f32 v[72:73], v[84:85], s[34:35], v[20:21] op_sel:[0,0,1] op_sel_hi:[1,0,0] neg_lo:[0,0,1] neg_hi:[0,0,1]
	v_pk_fma_f32 v[74:75], v[84:85], s[34:35], v[20:21] op_sel:[0,0,1] op_sel_hi:[1,0,0]
	v_mov_b32_e32 v21, v73
	v_mov_b32_e32 v20, v74
	v_pk_add_f32 v[90:91], v[26:27], v[28:29] neg_lo:[0,1] neg_hi:[0,1]
	v_pk_add_f32 v[16:17], v[16:17], v[20:21]
	s_mov_b32 s20, 0x3f116cb1
	v_pk_add_f32 v[88:89], v[26:27], v[28:29]
	v_pk_mul_f32 v[20:21], v[90:91], s[26:27] op_sel_hi:[1,0]
	s_mov_b32 s14, 0xbf52af12
	v_pk_fma_f32 v[76:77], v[88:89], s[20:21], v[20:21] op_sel:[0,0,1] op_sel_hi:[1,0,0] neg_lo:[0,0,1] neg_hi:[0,0,1]
	v_pk_fma_f32 v[78:79], v[88:89], s[20:21], v[20:21] op_sel:[0,0,1] op_sel_hi:[1,0,0]
	v_mov_b32_e32 v21, v77
	v_mov_b32_e32 v20, v78
	s_mov_b32 s28, 0xbf29c268
	v_pk_add_f32 v[16:17], v[16:17], v[20:21]
	v_pk_mul_f32 v[20:21], v[92:93], s[14:15] op_sel:[1,0] op_sel_hi:[0,0]
	s_mov_b32 s38, s17
	s_mov_b32 s39, s28
	;; [unrolled: 1-line block ×3, first 2 shown]
	v_pk_fma_f32 v[94:95], v[18:19], s[20:21], v[20:21] op_sel_hi:[1,0,1] neg_lo:[0,0,1] neg_hi:[0,0,1]
	v_pk_fma_f32 v[18:19], v[18:19], s[20:21], v[20:21] op_sel_hi:[1,0,1]
	s_mov_b32 s29, s17
	v_pk_mul_f32 v[20:21], v[66:67], s[38:39]
	s_mov_b32 s23, s30
	v_pk_fma_f32 v[96:97], v[2:3], s[28:29], v[20:21]
	v_pk_fma_f32 v[98:99], v[2:3], s[28:29], v[20:21] neg_lo:[0,0,1] neg_hi:[0,0,1]
	s_mov_b32 s31, s22
	v_pk_mul_f32 v[100:101], v[64:65], s[22:23]
	v_pk_fma_f32 v[20:21], v[22:23], s[28:29], v[20:21] op_sel:[1,0,0] neg_lo:[1,0,0] neg_hi:[1,0,0]
	v_mov_b32_e32 v98, v96
	v_pk_fma_f32 v[102:103], v[4:5], s[30:31], v[100:101]
	v_mov_b32_e32 v21, v97
	v_pk_fma_f32 v[96:97], v[24:25], s[30:31], v[100:101] op_sel:[1,0,0] neg_lo:[1,0,0] neg_hi:[1,0,0]
	v_pk_fma_f32 v[104:105], v[4:5], s[30:31], v[100:101] neg_lo:[0,0,1] neg_hi:[0,0,1]
	v_mov_b32_e32 v97, v103
	v_pk_add_f32 v[20:21], v[0:1], v[20:21]
	v_pk_add_f32 v[98:99], v[0:1], v[98:99]
	v_mov_b32_e32 v104, v102
	v_pk_add_f32 v[20:21], v[20:21], v[96:97]
	v_mov_b32_e32 v96, v94
	v_mov_b32_e32 v97, v19
	v_mov_b32_e32 v19, v95
	v_pk_mul_f32 v[94:95], v[82:83], s[36:37] op_sel_hi:[1,0]
	v_pk_add_f32 v[98:99], v[98:99], v[104:105]
	v_pk_add_f32 v[20:21], v[20:21], v[96:97]
	v_pk_fma_f32 v[96:97], v[80:81], s[34:35], v[94:95] op_sel:[0,0,1] op_sel_hi:[1,0,0] neg_lo:[0,0,1] neg_hi:[0,0,1]
	v_pk_fma_f32 v[94:95], v[80:81], s[34:35], v[94:95] op_sel:[0,0,1] op_sel_hi:[1,0,0]
	v_pk_add_f32 v[18:19], v[98:99], v[18:19]
	v_mov_b32_e32 v99, v95
	v_mov_b32_e32 v95, v97
	v_pk_add_f32 v[18:19], v[18:19], v[94:95]
	s_mov_b32 s34, s19
	v_pk_mul_f32 v[94:95], v[86:87], s[18:19] op_sel_hi:[1,0]
	v_mov_b32_e32 v98, v96
	v_pk_fma_f32 v[96:97], v[84:85], s[34:35], v[94:95] op_sel:[0,0,1] op_sel_hi:[1,0,0] neg_lo:[0,0,1] neg_hi:[0,0,1]
	v_pk_fma_f32 v[94:95], v[84:85], s[34:35], v[94:95] op_sel:[0,0,1] op_sel_hi:[1,0,0]
	v_pk_add_f32 v[20:21], v[20:21], v[98:99]
	v_mov_b32_e32 v99, v95
	v_mov_b32_e32 v95, v97
	;; [unrolled: 1-line block ×3, first 2 shown]
	v_pk_add_f32 v[94:95], v[18:19], v[94:95]
	s_mov_b32 s36, s5
	v_pk_mul_f32 v[18:19], v[90:91], s[4:5] op_sel_hi:[1,0]
	v_pk_add_f32 v[20:21], v[20:21], v[98:99]
	v_pk_fma_f32 v[96:97], v[88:89], s[36:37], v[18:19] op_sel:[0,0,1] op_sel_hi:[1,0,0] neg_lo:[0,0,1] neg_hi:[0,0,1]
	v_pk_fma_f32 v[98:99], v[88:89], s[36:37], v[18:19] op_sel:[0,0,1] op_sel_hi:[1,0,0]
	v_mov_b32_e32 v18, v96
	v_mov_b32_e32 v19, v99
	;; [unrolled: 1-line block ×3, first 2 shown]
	s_mov_b32 s34, s13
	s_mov_b32 s35, s12
	v_pk_add_f32 v[18:19], v[20:21], v[18:19]
	v_pk_add_f32 v[20:21], v[94:95], v[98:99]
	v_pk_mul_f32 v[94:95], v[66:67], s[34:35]
	v_pk_mul_f32 v[98:99], v[64:65], s[0:1]
	v_pk_fma_f32 v[22:23], v[22:23], s[12:13], v[94:95] op_sel:[1,0,0] neg_lo:[1,0,0] neg_hi:[1,0,0]
	v_pk_fma_f32 v[96:97], v[2:3], s[12:13], v[94:95]
	v_pk_fma_f32 v[24:25], v[24:25], s[18:19], v[98:99] op_sel:[1,0,0] neg_lo:[1,0,0] neg_hi:[1,0,0]
	v_mov_b32_e32 v23, v97
	v_pk_fma_f32 v[100:101], v[4:5], s[18:19], v[98:99]
	v_pk_add_f32 v[22:23], v[0:1], v[22:23]
	v_mov_b32_e32 v25, v101
	v_pk_add_f32 v[22:23], v[22:23], v[24:25]
	v_pk_mul_f32 v[24:25], v[62:63], s[38:39]
	v_pk_fma_f32 v[94:95], v[2:3], s[12:13], v[94:95] neg_lo:[0,0,1] neg_hi:[0,0,1]
	v_pk_fma_f32 v[92:93], v[92:93], s[28:29], v[24:25] op_sel:[1,0,0] neg_lo:[1,0,0] neg_hi:[1,0,0]
	v_pk_fma_f32 v[102:103], v[6:7], s[28:29], v[24:25]
	v_mov_b32_e32 v97, v95
	v_mov_b32_e32 v93, v103
	v_pk_add_f32 v[22:23], v[22:23], v[92:93]
	v_pk_mul_f32 v[92:93], v[82:83], s[26:27] op_sel_hi:[1,0]
	v_pk_fma_f32 v[94:95], v[4:5], s[18:19], v[98:99] neg_lo:[0,0,1] neg_hi:[0,0,1]
	v_pk_fma_f32 v[104:105], v[80:81], s[20:21], v[92:93] op_sel:[0,0,1] op_sel_hi:[1,0,0] neg_lo:[0,0,1] neg_hi:[0,0,1]
	v_pk_fma_f32 v[92:93], v[80:81], s[20:21], v[92:93] op_sel:[0,0,1] op_sel_hi:[1,0,0]
	v_mov_b32_e32 v106, v104
	v_mov_b32_e32 v107, v93
	v_pk_add_f32 v[22:23], v[22:23], v[106:107]
	v_pk_mul_f32 v[106:107], v[86:87], s[4:5] op_sel_hi:[1,0]
	v_mov_b32_e32 v101, v95
	v_pk_fma_f32 v[108:109], v[84:85], s[36:37], v[106:107] op_sel:[0,0,1] op_sel_hi:[1,0,0] neg_lo:[0,0,1] neg_hi:[0,0,1]
	v_pk_fma_f32 v[106:107], v[84:85], s[36:37], v[106:107] op_sel:[0,0,1] op_sel_hi:[1,0,0]
	v_pk_add_f32 v[94:95], v[0:1], v[96:97]
	v_pk_fma_f32 v[24:25], v[6:7], s[28:29], v[24:25] neg_lo:[0,0,1] neg_hi:[0,0,1]
	v_mov_b32_e32 v110, v108
	v_mov_b32_e32 v111, v107
	v_pk_add_f32 v[94:95], v[94:95], v[100:101]
	v_mov_b32_e32 v103, v25
	v_pk_add_f32 v[22:23], v[22:23], v[110:111]
	v_pk_mul_f32 v[110:111], v[90:91], s[30:31] op_sel_hi:[1,0]
	v_pk_add_f32 v[24:25], v[94:95], v[102:103]
	v_mov_b32_e32 v93, v105
	v_pk_fma_f32 v[112:113], v[88:89], s[22:23], v[110:111] op_sel:[0,0,1] op_sel_hi:[1,0,0] neg_lo:[0,0,1] neg_hi:[0,0,1]
	v_pk_fma_f32 v[110:111], v[88:89], s[22:23], v[110:111] op_sel:[0,0,1] op_sel_hi:[1,0,0]
	v_pk_add_f32 v[24:25], v[24:25], v[92:93]
	v_mov_b32_e32 v107, v109
	v_mov_b32_e32 v114, v112
	;; [unrolled: 1-line block ×3, first 2 shown]
	v_pk_add_f32 v[24:25], v[24:25], v[106:107]
	v_mov_b32_e32 v111, v113
	v_mul_u32_u24_e32 v13, 0x1c7, v13
	v_pk_add_f32 v[22:23], v[22:23], v[114:115]
	v_pk_add_f32 v[24:25], v[24:25], v[110:111]
	v_cmp_gt_u32_e64 s[0:1], 35, v12
	v_lshlrev_b32_e32 v13, 3, v13
	s_and_saveexec_b64 s[26:27], s[0:1]
	s_cbranch_execz .LBB0_14
; %bb.13:
	v_pk_add_f32 v[46:47], v[0:1], v[46:47]
	s_mov_b32 s1, 0xbeedf032
	v_pk_add_f32 v[32:33], v[46:47], v[32:33]
	s_mov_b32 s0, s19
	;; [unrolled: 2-line block ×4, first 2 shown]
	v_pk_add_f32 v[30:31], v[30:31], v[34:35]
	v_pk_mul_f32 v[34:35], v[64:65], s[20:21]
	v_pk_add_f32 v[26:27], v[30:31], v[26:27]
	s_mov_b32 s23, s10
	v_pk_add_f32 v[26:27], v[26:27], v[28:29]
	v_pk_mul_f32 v[28:29], v[66:67], s[0:1]
	v_pk_add_f32 v[26:27], v[36:37], v[26:27]
	s_mov_b32 s0, s1
	v_pk_add_f32 v[26:27], v[44:45], v[26:27]
	s_mov_b32 s1, s19
	v_pk_add_f32 v[26:27], v[42:43], v[26:27]
	v_pk_fma_f32 v[30:31], v[2:3], s[0:1], v[28:29] neg_lo:[1,0,0] neg_hi:[1,0,0]
	v_pk_add_f32 v[26:27], v[40:41], v[26:27]
	v_pk_fma_f32 v[32:33], v[2:3], s[0:1], v[28:29]
	v_pk_add_f32 v[26:27], v[38:39], v[26:27]
	v_mov_b32_e32 v31, v33
	v_pk_fma_f32 v[36:37], v[4:5], s[14:15], v[34:35] neg_lo:[1,0,0] neg_hi:[1,0,0]
	v_pk_fma_f32 v[38:39], v[4:5], s[14:15], v[34:35]
	v_pk_add_f32 v[30:31], v[0:1], v[30:31]
	v_mov_b32_e32 v37, v39
	v_pk_add_f32 v[30:31], v[30:31], v[36:37]
	v_pk_mul_f32 v[36:37], v[62:63], s[22:23]
	s_mov_b32 s11, s22
	v_pk_fma_f32 v[40:41], v[6:7], s[10:11], v[36:37] neg_lo:[1,0,0] neg_hi:[1,0,0]
	v_pk_fma_f32 v[42:43], v[6:7], s[10:11], v[36:37]
	s_mov_b32 s36, s5
	v_mov_b32_e32 v41, v43
	v_pk_add_f32 v[30:31], v[30:31], v[40:41]
	v_pk_mul_f32 v[40:41], v[82:83], s[4:5] op_sel_hi:[1,0]
	s_mov_b32 s38, s13
	v_pk_fma_f32 v[44:45], v[80:81], s[36:37], v[40:41] op_sel:[0,0,1] op_sel_hi:[1,0,0] neg_lo:[0,0,1] neg_hi:[0,0,1]
	v_pk_fma_f32 v[40:41], v[80:81], s[36:37], v[40:41] op_sel:[0,0,1] op_sel_hi:[1,0,0]
	v_mov_b32_e32 v46, v44
	v_mov_b32_e32 v47, v41
	v_pk_add_f32 v[30:31], v[30:31], v[46:47]
	s_mov_b32 s36, s17
	v_pk_mul_f32 v[46:47], v[86:87], s[28:29] op_sel_hi:[1,0]
	v_mul_u32_u24_e32 v15, 0x68, v12
	v_pk_fma_f32 v[48:49], v[84:85], s[36:37], v[46:47] op_sel:[0,0,1] op_sel_hi:[1,0,0] neg_lo:[0,0,1] neg_hi:[0,0,1]
	v_pk_fma_f32 v[46:47], v[84:85], s[36:37], v[46:47] op_sel:[0,0,1] op_sel_hi:[1,0,0]
	v_mov_b32_e32 v92, v48
	v_mov_b32_e32 v93, v47
	v_pk_add_f32 v[30:31], v[30:31], v[92:93]
	v_pk_mul_f32 v[92:93], v[90:91], s[12:13] op_sel_hi:[1,0]
	v_add3_u32 v15, 0, v15, v13
	v_pk_fma_f32 v[94:95], v[88:89], s[38:39], v[92:93] op_sel:[0,0,1] op_sel_hi:[1,0,0] neg_lo:[0,0,1] neg_hi:[0,0,1]
	v_pk_fma_f32 v[92:93], v[88:89], s[38:39], v[92:93] op_sel:[0,0,1] op_sel_hi:[1,0,0]
	v_mov_b32_e32 v96, v94
	v_mov_b32_e32 v97, v93
	v_pk_add_f32 v[30:31], v[30:31], v[96:97]
	ds_write2_b64 v15, v[26:27], v[30:31] offset1:1
	v_pk_mul_f32 v[26:27], v[66:67], s[20:21]
	v_pk_mul_f32 v[98:99], v[64:65], s[24:25]
	v_pk_fma_f32 v[30:31], v[2:3], s[14:15], v[26:27] neg_lo:[1,0,0] neg_hi:[1,0,0]
	v_pk_fma_f32 v[96:97], v[2:3], s[14:15], v[26:27]
	v_pk_fma_f32 v[100:101], v[4:5], s[4:5], v[98:99] neg_lo:[1,0,0] neg_hi:[1,0,0]
	v_mov_b32_e32 v31, v97
	v_pk_fma_f32 v[102:103], v[4:5], s[4:5], v[98:99]
	v_pk_add_f32 v[30:31], v[0:1], v[30:31]
	v_mov_b32_e32 v101, v103
	v_pk_add_f32 v[30:31], v[30:31], v[100:101]
	v_pk_mul_f32 v[100:101], v[62:63], s[34:35]
	s_mov_b32 s24, s19
	v_pk_fma_f32 v[104:105], v[6:7], s[12:13], v[100:101] neg_lo:[1,0,0] neg_hi:[1,0,0]
	v_pk_fma_f32 v[106:107], v[6:7], s[12:13], v[100:101]
	v_pk_mul_f32 v[66:67], v[66:67], s[22:23]
	v_mov_b32_e32 v105, v107
	v_pk_add_f32 v[30:31], v[30:31], v[104:105]
	v_pk_mul_f32 v[104:105], v[82:83], s[16:17] op_sel_hi:[1,0]
	v_pk_fma_f32 v[120:121], v[2:3], s[10:11], v[66:67]
	v_pk_fma_f32 v[108:109], v[80:81], s[36:37], v[104:105] op_sel:[0,0,1] op_sel_hi:[1,0,0] neg_lo:[0,0,1] neg_hi:[0,0,1]
	v_pk_fma_f32 v[104:105], v[80:81], s[36:37], v[104:105] op_sel:[0,0,1] op_sel_hi:[1,0,0]
	v_mov_b32_e32 v110, v108
	v_mov_b32_e32 v111, v105
	v_pk_add_f32 v[30:31], v[30:31], v[110:111]
	v_pk_mul_f32 v[110:111], v[86:87], s[30:31] op_sel_hi:[1,0]
	v_pk_mul_f32 v[64:65], v[64:65], s[34:35]
	v_pk_fma_f32 v[112:113], v[84:85], s[22:23], v[110:111] op_sel:[0,0,1] op_sel_hi:[1,0,0] neg_lo:[0,0,1] neg_hi:[0,0,1]
	v_pk_fma_f32 v[110:111], v[84:85], s[22:23], v[110:111] op_sel:[0,0,1] op_sel_hi:[1,0,0]
	v_mov_b32_e32 v114, v112
	v_mov_b32_e32 v115, v111
	v_pk_add_f32 v[30:31], v[30:31], v[114:115]
	v_pk_mul_f32 v[114:115], v[90:91], s[18:19] op_sel_hi:[1,0]
	v_pk_fma_f32 v[122:123], v[4:5], s[12:13], v[64:65] neg_lo:[1,0,0] neg_hi:[1,0,0]
	v_pk_fma_f32 v[116:117], v[88:89], s[24:25], v[114:115] op_sel:[0,0,1] op_sel_hi:[1,0,0] neg_lo:[0,0,1] neg_hi:[0,0,1]
	v_pk_fma_f32 v[114:115], v[88:89], s[24:25], v[114:115] op_sel:[0,0,1] op_sel_hi:[1,0,0]
	v_mov_b32_e32 v118, v116
	v_mov_b32_e32 v119, v115
	v_pk_add_f32 v[30:31], v[30:31], v[118:119]
	v_pk_fma_f32 v[118:119], v[2:3], s[10:11], v[66:67] neg_lo:[1,0,0] neg_hi:[1,0,0]
	v_pk_fma_f32 v[124:125], v[4:5], s[12:13], v[64:65]
	v_mov_b32_e32 v119, v121
	s_mov_b32 s23, 0x3f6f5d39
	s_mov_b32 s22, s5
	v_pk_add_f32 v[118:119], v[0:1], v[118:119]
	v_mov_b32_e32 v123, v125
	v_pk_mul_f32 v[62:63], v[62:63], s[22:23]
	s_mov_b32 s22, s23
	s_mov_b32 s23, s5
	v_pk_add_f32 v[118:119], v[118:119], v[122:123]
	v_pk_fma_f32 v[122:123], v[6:7], s[22:23], v[62:63] neg_lo:[1,0,0] neg_hi:[1,0,0]
	v_pk_fma_f32 v[126:127], v[6:7], s[22:23], v[62:63]
	v_pk_mul_f32 v[82:83], v[82:83], s[18:19] op_sel_hi:[1,0]
	v_mov_b32_e32 v123, v127
	v_pk_add_f32 v[118:119], v[118:119], v[122:123]
	v_pk_fma_f32 v[122:123], v[80:81], s[24:25], v[82:83] op_sel:[0,0,1] op_sel_hi:[1,0,0] neg_lo:[0,0,1] neg_hi:[0,0,1]
	v_pk_fma_f32 v[80:81], v[80:81], s[24:25], v[82:83] op_sel:[0,0,1] op_sel_hi:[1,0,0]
	v_mov_b32_e32 v82, v122
	v_mov_b32_e32 v83, v81
	v_pk_mul_f32 v[86:87], v[86:87], s[14:15] op_sel_hi:[1,0]
	v_pk_add_f32 v[82:83], v[118:119], v[82:83]
	v_pk_fma_f32 v[118:119], v[84:85], s[20:21], v[86:87] op_sel:[0,0,1] op_sel_hi:[1,0,0] neg_lo:[0,0,1] neg_hi:[0,0,1]
	v_pk_fma_f32 v[84:85], v[84:85], s[20:21], v[86:87] op_sel:[0,0,1] op_sel_hi:[1,0,0]
	v_mov_b32_e32 v86, v118
	v_mov_b32_e32 v87, v85
	v_pk_add_f32 v[82:83], v[82:83], v[86:87]
	v_pk_mul_f32 v[86:87], v[90:91], s[28:29] op_sel_hi:[1,0]
	v_mov_b32_e32 v69, v71
	v_pk_fma_f32 v[90:91], v[88:89], s[36:37], v[86:87] op_sel:[0,0,1] op_sel_hi:[1,0,0] neg_lo:[0,0,1] neg_hi:[0,0,1]
	v_pk_fma_f32 v[86:87], v[88:89], s[36:37], v[86:87] op_sel:[0,0,1] op_sel_hi:[1,0,0]
	v_mov_b32_e32 v88, v90
	v_mov_b32_e32 v89, v87
	v_pk_add_f32 v[82:83], v[82:83], v[88:89]
	v_pk_mul_f32 v[88:89], v[2:3], s[4:5]
	ds_write2_b64 v15, v[30:31], v[82:83] offset0:2 offset1:3
	v_pk_mul_f32 v[30:31], v[4:5], s[16:17]
	v_pk_add_f32 v[50:51], v[50:51], v[88:89] neg_lo:[0,1] neg_hi:[0,1]
	v_pk_add_f32 v[30:31], v[54:55], v[30:31] neg_lo:[0,1] neg_hi:[0,1]
	v_mov_b32_e32 v51, v53
	v_pk_mul_f32 v[82:83], v[6:7], s[18:19]
	v_pk_add_f32 v[50:51], v[0:1], v[50:51]
	v_mov_b32_e32 v31, v57
	v_pk_add_f32 v[30:31], v[50:51], v[30:31]
	v_pk_add_f32 v[50:51], v[58:59], v[82:83] neg_lo:[0,1] neg_hi:[0,1]
	v_mov_b32_e32 v73, v75
	v_mov_b32_e32 v51, v61
	v_pk_add_f32 v[30:31], v[30:31], v[50:51]
	v_mov_b32_e32 v77, v79
	v_pk_add_f32 v[30:31], v[30:31], v[68:69]
	v_pk_fma_f32 v[50:51], v[4:5], s[12:13], v[64:65] neg_lo:[0,0,1] neg_hi:[0,0,1]
	v_pk_add_f32 v[30:31], v[30:31], v[72:73]
	v_mov_b32_e32 v125, v51
	v_pk_add_f32 v[30:31], v[30:31], v[76:77]
	ds_write2_b64 v15, v[30:31], v[18:19] offset0:4 offset1:5
	ds_write2_b64 v15, v[22:23], v[24:25] offset0:6 offset1:7
	;; [unrolled: 1-line block ×3, first 2 shown]
	v_pk_fma_f32 v[30:31], v[2:3], s[10:11], v[66:67] neg_lo:[0,0,1] neg_hi:[0,0,1]
	v_pk_fma_f32 v[50:51], v[6:7], s[22:23], v[62:63] neg_lo:[0,0,1] neg_hi:[0,0,1]
	;; [unrolled: 1-line block ×4, first 2 shown]
	v_mov_b32_e32 v121, v31
	v_mov_b32_e32 v127, v51
	;; [unrolled: 1-line block ×3, first 2 shown]
	v_pk_fma_f32 v[50:51], v[4:5], s[4:5], v[98:99] neg_lo:[0,0,1] neg_hi:[0,0,1]
	v_mov_b32_e32 v33, v3
	v_pk_fma_f32 v[2:3], v[4:5], s[14:15], v[34:35] neg_lo:[0,0,1] neg_hi:[0,0,1]
	v_pk_add_f32 v[30:31], v[0:1], v[120:121]
	v_pk_add_f32 v[26:27], v[0:1], v[96:97]
	v_mov_b32_e32 v103, v51
	v_pk_fma_f32 v[50:51], v[6:7], s[12:13], v[100:101] neg_lo:[0,0,1] neg_hi:[0,0,1]
	v_pk_add_f32 v[0:1], v[0:1], v[32:33]
	v_mov_b32_e32 v39, v3
	v_pk_fma_f32 v[2:3], v[6:7], s[10:11], v[36:37] neg_lo:[0,0,1] neg_hi:[0,0,1]
	v_pk_add_f32 v[30:31], v[30:31], v[124:125]
	v_pk_add_f32 v[26:27], v[26:27], v[102:103]
	v_mov_b32_e32 v107, v51
	v_pk_add_f32 v[0:1], v[0:1], v[38:39]
	v_mov_b32_e32 v43, v3
	;; [unrolled: 2-line block ×11, first 2 shown]
	v_pk_add_f32 v[30:31], v[30:31], v[86:87]
	v_pk_add_f32 v[26:27], v[26:27], v[114:115]
	;; [unrolled: 1-line block ×3, first 2 shown]
	ds_write2_b64 v15, v[30:31], v[26:27] offset0:10 offset1:11
	ds_write_b64 v15, v[0:1] offset:96
.LBB0_14:
	s_or_b64 exec, exec, s[26:27]
	v_lshlrev_b32_e32 v0, 3, v12
	v_add3_u32 v28, 0, v0, v13
	v_add3_u32 v15, 0, v13, v0
	v_add_u32_e32 v4, 0x800, v28
	s_waitcnt lgkmcnt(0)
	s_barrier
	ds_read_b64 v[26:27], v15
	ds_read2_b64 v[0:3], v28 offset0:91 offset1:182
	ds_read2_b64 v[4:7], v4 offset0:17 offset1:108
	v_cmp_gt_u32_e64 s[0:1], 26, v12
	s_and_saveexec_b64 s[4:5], s[0:1]
	s_cbranch_execz .LBB0_16
; %bb.15:
	v_add_u32_e32 v16, 0x400, v28
	ds_read2_b64 v[18:21], v16 offset0:119 offset1:210
	ds_read2_b64 v[30:33], v28 offset0:65 offset1:156
	ds_read_b64 v[16:17], v28 offset:3432
	s_waitcnt lgkmcnt(2)
	v_mov_b32_e32 v25, v19
	v_mov_b32_e32 v24, v18
	s_waitcnt lgkmcnt(1)
	v_mov_b32_e32 v23, v33
	v_mov_b32_e32 v22, v32
	v_mov_b64_e32 v[18:19], v[30:31]
.LBB0_16:
	s_or_b64 exec, exec, s[4:5]
	s_movk_i32 s11, 0x4f
	v_mul_lo_u16_sdwa v29, v12, s11 dst_sel:DWORD dst_unused:UNUSED_PAD src0_sel:BYTE_0 src1_sel:DWORD
	v_lshrrev_b16_e32 v31, 10, v29
	v_mul_lo_u16_e32 v29, 13, v31
	v_sub_u16_e32 v40, v12, v29
	v_mov_b32_e32 v30, 5
	v_lshlrev_b32_sdwa v29, v30, v40 dst_sel:DWORD dst_unused:UNUSED_PAD src0_sel:DWORD src1_sel:BYTE_0
	global_load_dwordx4 v[32:35], v29, s[8:9]
	global_load_dwordx4 v[36:39], v29, s[8:9] offset:16
	s_movk_i32 s5, 0x208
	v_mov_b32_e32 v29, 3
	v_mad_u32_u24 v31, v31, s5, 0
	v_lshlrev_b32_sdwa v40, v29, v40 dst_sel:DWORD dst_unused:UNUSED_PAD src0_sel:DWORD src1_sel:BYTE_0
	v_add3_u32 v31, v31, v40, v13
	s_mov_b32 s10, 0x3f737871
	s_mov_b32 s12, 0x3f167918
	;; [unrolled: 1-line block ×3, first 2 shown]
	s_waitcnt lgkmcnt(0)
	s_barrier
	s_waitcnt vmcnt(1)
	v_pk_mul_f32 v[40:41], v[32:33], v[0:1] op_sel:[0,1]
	v_pk_mul_f32 v[42:43], v[34:35], v[2:3] op_sel:[0,1]
	s_waitcnt vmcnt(0)
	v_pk_mul_f32 v[44:45], v[36:37], v[4:5] op_sel:[0,1]
	v_pk_mul_f32 v[46:47], v[38:39], v[6:7] op_sel:[0,1]
	v_pk_fma_f32 v[48:49], v[32:33], v[0:1], v[40:41] op_sel:[0,0,1] op_sel_hi:[1,1,0] neg_lo:[0,0,1] neg_hi:[0,0,1]
	v_pk_fma_f32 v[0:1], v[32:33], v[0:1], v[40:41] op_sel:[0,0,1] op_sel_hi:[1,0,0]
	v_pk_fma_f32 v[32:33], v[34:35], v[2:3], v[42:43] op_sel:[0,0,1] op_sel_hi:[1,1,0] neg_lo:[0,0,1] neg_hi:[0,0,1]
	v_pk_fma_f32 v[2:3], v[34:35], v[2:3], v[42:43] op_sel:[0,0,1] op_sel_hi:[1,0,0]
	;; [unrolled: 2-line block ×4, first 2 shown]
	v_mov_b32_e32 v49, v1
	v_mov_b32_e32 v33, v3
	;; [unrolled: 1-line block ×4, first 2 shown]
	v_pk_add_f32 v[0:1], v[26:27], v[48:49]
	v_pk_add_f32 v[2:3], v[32:33], v[34:35]
	v_pk_add_f32 v[4:5], v[48:49], v[36:37] neg_lo:[0,1] neg_hi:[0,1]
	v_pk_add_f32 v[6:7], v[32:33], v[34:35] neg_lo:[0,1] neg_hi:[0,1]
	;; [unrolled: 1-line block ×3, first 2 shown]
	v_pk_add_f32 v[42:43], v[48:49], v[36:37]
	v_pk_add_f32 v[44:45], v[32:33], v[48:49] neg_lo:[0,1] neg_hi:[0,1]
	v_pk_add_f32 v[0:1], v[0:1], v[32:33]
	v_pk_fma_f32 v[2:3], v[2:3], 0.5, v[26:27] op_sel_hi:[1,0,1] neg_lo:[1,0,0] neg_hi:[1,0,0]
	v_pk_mul_f32 v[32:33], v[4:5], s[10:11] op_sel_hi:[1,0]
	v_pk_add_f32 v[40:41], v[36:37], v[34:35] neg_lo:[0,1] neg_hi:[0,1]
	v_pk_add_f32 v[46:47], v[34:35], v[36:37] neg_lo:[0,1] neg_hi:[0,1]
	v_pk_mul_f32 v[48:49], v[6:7], s[12:13] op_sel_hi:[1,0]
	v_pk_fma_f32 v[26:27], v[42:43], 0.5, v[26:27] op_sel_hi:[1,0,1] neg_lo:[1,0,0] neg_hi:[1,0,0]
	v_pk_mul_f32 v[6:7], v[6:7], s[10:11] op_sel_hi:[1,0]
	v_pk_add_f32 v[0:1], v[0:1], v[34:35]
	v_pk_add_f32 v[34:35], v[2:3], v[32:33] op_sel:[0,1] op_sel_hi:[1,0]
	v_pk_add_f32 v[2:3], v[2:3], v[32:33] op_sel:[0,1] op_sel_hi:[1,0] neg_lo:[0,1] neg_hi:[0,1]
	v_pk_mul_f32 v[4:5], v[4:5], s[12:13] op_sel_hi:[1,0]
	v_pk_add_f32 v[32:33], v[26:27], v[6:7] op_sel:[0,1] op_sel_hi:[1,0] neg_lo:[0,1] neg_hi:[0,1]
	v_pk_add_f32 v[6:7], v[26:27], v[6:7] op_sel:[0,1] op_sel_hi:[1,0]
	v_pk_add_f32 v[2:3], v[2:3], v[48:49] op_sel:[0,1] op_sel_hi:[1,0] neg_lo:[0,1] neg_hi:[0,1]
	v_pk_add_f32 v[26:27], v[34:35], v[48:49] op_sel:[0,1] op_sel_hi:[1,0]
	v_pk_add_f32 v[38:39], v[38:39], v[40:41]
	v_pk_add_f32 v[6:7], v[6:7], v[4:5] op_sel:[0,1] op_sel_hi:[1,0] neg_lo:[0,1] neg_hi:[0,1]
	v_pk_add_f32 v[4:5], v[32:33], v[4:5] op_sel:[0,1] op_sel_hi:[1,0]
	v_mov_b32_e32 v32, v26
	v_mov_b32_e32 v33, v3
	v_pk_add_f32 v[40:41], v[44:45], v[46:47]
	v_pk_add_f32 v[0:1], v[0:1], v[36:37]
	v_mov_b32_e32 v34, v4
	v_mov_b32_e32 v35, v7
	;; [unrolled: 1-line block ×4, first 2 shown]
	v_pk_fma_f32 v[4:5], v[38:39], s[4:5], v[32:33] op_sel_hi:[1,0,1]
	v_pk_fma_f32 v[26:27], v[40:41], s[4:5], v[34:35] op_sel_hi:[1,0,1]
	;; [unrolled: 1-line block ×4, first 2 shown]
	ds_write2_b64 v31, v[0:1], v[4:5] offset1:13
	ds_write2_b64 v31, v[26:27], v[6:7] offset0:26 offset1:39
	ds_write_b64 v31, v[2:3] offset:416
	s_and_saveexec_b64 s[14:15], s[0:1]
	s_cbranch_execz .LBB0_18
; %bb.17:
	v_add_u16_e32 v0, 0x41, v12
	v_mul_lo_u16_sdwa v1, v0, s11 dst_sel:DWORD dst_unused:UNUSED_PAD src0_sel:BYTE_0 src1_sel:DWORD
	v_lshrrev_b16_e32 v27, 10, v1
	v_mul_lo_u16_e32 v1, 13, v27
	v_sub_u16_e32 v31, v0, v1
	v_lshlrev_b32_sdwa v26, v30, v31 dst_sel:DWORD dst_unused:UNUSED_PAD src0_sel:DWORD src1_sel:BYTE_0
	global_load_dwordx4 v[0:3], v26, s[8:9]
	global_load_dwordx4 v[4:7], v26, s[8:9] offset:16
	v_mov_b32_e32 v26, v23
	v_mov_b32_e32 v30, v25
	;; [unrolled: 1-line block ×3, first 2 shown]
	v_mad_u32_u24 v21, v27, s5, 0
	v_lshlrev_b32_sdwa v23, v29, v31 dst_sel:DWORD dst_unused:UNUSED_PAD src0_sel:DWORD src1_sel:BYTE_0
	v_add3_u32 v13, v21, v23, v13
	s_waitcnt vmcnt(1)
	v_pk_mul_f32 v[26:27], v[26:27], v[0:1] op_sel_hi:[0,1]
	v_pk_mul_f32 v[30:31], v[30:31], v[2:3] op_sel_hi:[0,1]
	s_waitcnt vmcnt(0)
	v_pk_mul_f32 v[34:35], v[16:17], v[6:7] op_sel:[1,0]
	v_pk_mul_f32 v[32:33], v[32:33], v[4:5] op_sel_hi:[0,1]
	v_pk_fma_f32 v[36:37], v[22:23], v[0:1], v[26:27] op_sel:[0,0,1] op_sel_hi:[1,1,0] neg_lo:[0,0,1] neg_hi:[0,0,1]
	v_pk_fma_f32 v[0:1], v[22:23], v[0:1], v[26:27] op_sel:[0,0,1] op_sel_hi:[0,1,0]
	v_pk_fma_f32 v[22:23], v[24:25], v[2:3], v[30:31] op_sel:[0,0,1] op_sel_hi:[1,1,0] neg_lo:[0,0,1] neg_hi:[0,0,1]
	v_pk_fma_f32 v[2:3], v[24:25], v[2:3], v[30:31] op_sel:[0,0,1] op_sel_hi:[0,1,0]
	;; [unrolled: 2-line block ×4, first 2 shown]
	v_mov_b32_e32 v37, v1
	v_mov_b32_e32 v23, v3
	v_mov_b32_e32 v25, v7
	v_mov_b32_e32 v17, v5
	v_pk_add_f32 v[0:1], v[18:19], v[36:37]
	v_pk_add_f32 v[2:3], v[36:37], v[22:23] neg_lo:[0,1] neg_hi:[0,1]
	v_pk_add_f32 v[4:5], v[24:25], v[16:17] neg_lo:[0,1] neg_hi:[0,1]
	v_pk_add_f32 v[6:7], v[22:23], v[16:17]
	v_pk_add_f32 v[20:21], v[36:37], v[24:25] neg_lo:[0,1] neg_hi:[0,1]
	v_pk_add_f32 v[26:27], v[22:23], v[16:17] neg_lo:[0,1] neg_hi:[0,1]
	v_pk_add_f32 v[34:35], v[36:37], v[24:25]
	v_pk_add_f32 v[0:1], v[0:1], v[22:23]
	;; [unrolled: 1-line block ×3, first 2 shown]
	v_pk_fma_f32 v[4:5], v[6:7], 0.5, v[18:19] op_sel_hi:[1,0,1] neg_lo:[1,0,0] neg_hi:[1,0,0]
	v_pk_mul_f32 v[6:7], v[20:21], s[10:11] op_sel_hi:[1,0]
	v_pk_add_f32 v[30:31], v[22:23], v[36:37] neg_lo:[0,1] neg_hi:[0,1]
	v_pk_add_f32 v[32:33], v[16:17], v[24:25] neg_lo:[0,1] neg_hi:[0,1]
	v_pk_mul_f32 v[22:23], v[26:27], s[12:13] op_sel_hi:[1,0]
	v_pk_fma_f32 v[18:19], v[34:35], 0.5, v[18:19] op_sel_hi:[1,0,1] neg_lo:[1,0,0] neg_hi:[1,0,0]
	v_pk_mul_f32 v[26:27], v[26:27], s[10:11] op_sel_hi:[1,0]
	v_pk_add_f32 v[0:1], v[0:1], v[16:17]
	v_pk_add_f32 v[16:17], v[4:5], v[6:7] op_sel:[0,1] op_sel_hi:[1,0]
	v_pk_add_f32 v[4:5], v[4:5], v[6:7] op_sel:[0,1] op_sel_hi:[1,0] neg_lo:[0,1] neg_hi:[0,1]
	v_pk_mul_f32 v[20:21], v[20:21], s[12:13] op_sel_hi:[1,0]
	v_pk_add_f32 v[6:7], v[18:19], v[26:27] op_sel:[0,1] op_sel_hi:[1,0] neg_lo:[0,1] neg_hi:[0,1]
	v_pk_add_f32 v[18:19], v[18:19], v[26:27] op_sel:[0,1] op_sel_hi:[1,0]
	v_pk_add_f32 v[4:5], v[4:5], v[22:23] op_sel:[0,1] op_sel_hi:[1,0] neg_lo:[0,1] neg_hi:[0,1]
	v_pk_add_f32 v[16:17], v[16:17], v[22:23] op_sel:[0,1] op_sel_hi:[1,0]
	v_pk_add_f32 v[18:19], v[18:19], v[20:21] op_sel:[0,1] op_sel_hi:[1,0] neg_lo:[0,1] neg_hi:[0,1]
	v_pk_add_f32 v[6:7], v[6:7], v[20:21] op_sel:[0,1] op_sel_hi:[1,0]
	v_mov_b32_e32 v20, v16
	v_mov_b32_e32 v21, v5
	v_pk_add_f32 v[30:31], v[30:31], v[32:33]
	v_pk_add_f32 v[0:1], v[0:1], v[24:25]
	v_mov_b32_e32 v22, v6
	v_mov_b32_e32 v23, v19
	;; [unrolled: 1-line block ×4, first 2 shown]
	v_pk_fma_f32 v[6:7], v[2:3], s[4:5], v[20:21] op_sel_hi:[1,0,1]
	v_pk_fma_f32 v[16:17], v[30:31], s[4:5], v[22:23] op_sel_hi:[1,0,1]
	;; [unrolled: 1-line block ×4, first 2 shown]
	ds_write2_b64 v13, v[0:1], v[6:7] offset1:13
	ds_write2_b64 v13, v[16:17], v[18:19] offset0:26 offset1:39
	ds_write_b64 v13, v[2:3] offset:416
.LBB0_18:
	s_or_b64 exec, exec, s[14:15]
	s_waitcnt lgkmcnt(0)
	s_barrier
	s_and_saveexec_b64 s[0:1], vcc
	s_cbranch_execz .LBB0_20
; %bb.19:
	v_mul_u32_u24_e32 v0, 6, v12
	v_lshlrev_b32_e32 v12, 3, v0
	global_load_dwordx4 v[0:3], v12, s[8:9] offset:416
	global_load_dwordx4 v[4:7], v12, s[8:9] offset:448
	;; [unrolled: 1-line block ×3, first 2 shown]
	v_mul_lo_u32 v20, s3, v10
	v_mul_lo_u32 v21, s2, v11
	v_mad_u64_u32 v[30:31], s[0:1], s2, v10, 0
	v_add_u32_e32 v22, 0x800, v28
	v_add_u32_e32 v24, 0x400, v28
	ds_read2_b64 v[10:13], v28 offset0:65 offset1:130
	ds_read_b64 v[28:29], v15
	v_add3_u32 v31, v31, v21, v20
	ds_read2_b64 v[20:23], v22 offset0:69 offset1:134
	ds_read2_b64 v[24:27], v24 offset0:67 offset1:132
	v_lshl_add_u64 v[30:31], v[30:31], 3, s[6:7]
	v_mov_b32_e32 v15, 0
	v_lshl_add_u64 v[8:9], v[8:9], 3, v[30:31]
	s_waitcnt lgkmcnt(3)
	v_mov_b32_e32 v30, v13
	s_waitcnt lgkmcnt(0)
	v_mov_b32_e32 v31, v27
	v_mov_b32_e32 v34, v21
	;; [unrolled: 1-line block ×3, first 2 shown]
	v_lshl_add_u64 v[8:9], v[14:15], 3, v[8:9]
	v_mov_b32_e32 v14, v12
	v_mov_b32_e32 v15, v26
	v_mov_b32_e32 v32, v20
	v_mov_b32_e32 v33, v24
	s_mov_b32 s2, 0xbf08b237
	s_mov_b32 s3, 0x3eae86e6
	;; [unrolled: 1-line block ×5, first 2 shown]
	s_waitcnt vmcnt(2)
	v_mul_f32_e32 v37, v1, v11
	s_waitcnt vmcnt(1)
	v_mul_f32_e32 v39, v7, v23
	v_mul_f32_e32 v36, v6, v23
	;; [unrolled: 1-line block ×5, first 2 shown]
	s_waitcnt vmcnt(0)
	v_mul_f32_e32 v13, v16, v25
	v_mov_b32_e32 v40, v5
	v_mov_b32_e32 v42, v5
	;; [unrolled: 1-line block ×7, first 2 shown]
	v_mul_f32_e32 v11, v17, v24
	v_mov_b32_e32 v45, v18
	v_fma_f32 v24, v0, v10, -v37
	v_fmac_f32_e32 v38, v1, v10
	v_fma_f32 v10, v2, v12, -v23
	v_pk_mul_f32 v[0:1], v[4:5], v[34:35]
	v_pk_mul_f32 v[2:3], v[2:3], v[30:31]
	v_mul_f32_e32 v25, v19, v26
	v_mul_f32_e32 v27, v18, v27
	v_fma_f32 v26, v6, v22, -v39
	v_fmac_f32_e32 v36, v7, v22
	v_fma_f32 v12, v4, v20, -v21
	v_pk_fma_f32 v[6:7], v[40:41], v[32:33], v[0:1]
	v_pk_fma_f32 v[0:1], v[42:43], v[32:33], v[0:1] neg_lo:[0,0,1] neg_hi:[0,0,1]
	v_pk_fma_f32 v[16:17], v[16:17], v[14:15], v[2:3]
	v_pk_fma_f32 v[2:3], v[44:45], v[14:15], v[2:3] neg_lo:[0,0,1] neg_hi:[0,0,1]
	v_sub_f32_e32 v37, v10, v12
	v_pk_add_f32 v[14:15], v[24:25], v[26:27]
	v_pk_add_f32 v[10:11], v[10:11], v[12:13]
	v_mov_b32_e32 v7, v1
	v_mov_b32_e32 v17, v3
	;; [unrolled: 1-line block ×7, first 2 shown]
	v_pk_add_f32 v[2:3], v[16:17], v[6:7]
	v_pk_add_f32 v[6:7], v[16:17], v[6:7] neg_lo:[0,1] neg_hi:[0,1]
	v_pk_add_f32 v[12:13], v[12:13], v[18:19] neg_lo:[0,1] neg_hi:[0,1]
	v_mov_b32_e32 v39, v7
	v_pk_add_f32 v[16:17], v[6:7], v[36:37]
	v_pk_add_f32 v[22:23], v[12:13], v[6:7]
	v_pk_add_f32 v[24:25], v[38:39], v[36:37] neg_lo:[0,1] neg_hi:[0,1]
	v_mov_b32_e32 v23, v13
	v_mov_b32_e32 v25, v17
	v_add_f32_e32 v5, v38, v36
	v_mov_b32_e32 v0, v1
	v_mov_b32_e32 v1, v2
	;; [unrolled: 1-line block ×3, first 2 shown]
	v_pk_add_f32 v[16:17], v[22:23], v[24:25]
	v_mov_b32_e32 v25, v7
	v_pk_add_f32 v[20:21], v[14:15], v[10:11]
	v_pk_add_f32 v[22:23], v[24:25], v[36:37] neg_lo:[0,1] neg_hi:[0,1]
	v_pk_add_f32 v[0:1], v[4:5], v[0:1]
	v_pk_mul_f32 v[22:23], v[22:23], s[4:5]
	v_pk_add_f32 v[30:31], v[20:21], v[0:1]
	v_mov_b32_e32 v15, v21
	v_mov_b32_e32 v1, v2
	s_mov_b32 s4, 0x3f4a47b2
	v_pk_add_f32 v[32:33], v[14:15], v[0:1] neg_lo:[0,1] neg_hi:[0,1]
	s_mov_b32 s5, 0x3d64c772
	v_mov_b32_e32 v1, v5
	v_mov_b32_e32 v11, v21
	v_pk_add_f32 v[18:19], v[12:13], v[6:7] neg_lo:[0,1] neg_hi:[0,1]
	v_pk_add_f32 v[0:1], v[0:1], v[10:11] neg_lo:[0,1] neg_hi:[0,1]
	s_mov_b32 s6, s5
	s_mov_b32 s7, s4
	v_pk_mul_f32 v[26:27], v[18:19], s[2:3]
	v_pk_add_f32 v[28:29], v[30:31], v[28:29]
	v_pk_mul_f32 v[32:33], v[32:33], s[4:5]
	v_pk_mul_f32 v[20:21], v[0:1], s[6:7]
	s_mov_b32 s4, 0xbf955555
	v_mov_b32_e32 v7, v37
	v_mov_b32_e32 v25, v13
	;; [unrolled: 1-line block ×4, first 2 shown]
	v_pk_fma_f32 v[30:31], v[30:31], s[4:5], v[28:29] op_sel_hi:[1,0,1]
	v_pk_fma_f32 v[18:19], v[18:19], s[2:3], v[22:23]
	v_pk_add_f32 v[6:7], v[6:7], v[24:25] neg_lo:[0,1] neg_hi:[0,1]
	s_mov_b32 s2, 0x3f5ff5aa
	v_mov_b32_e32 v12, v32
	v_mov_b32_e32 v13, v21
	v_pk_add_f32 v[2:3], v[10:11], v[14:15] neg_lo:[0,1] neg_hi:[0,1]
	s_mov_b32 s4, 0x3f3bfb3b
	v_mov_b32_e32 v10, v22
	v_mov_b32_e32 v11, v27
	v_pk_fma_f32 v[4:5], v[2:3], s[4:5], v[12:13] op_sel_hi:[1,0,1] neg_lo:[1,0,1] neg_hi:[1,0,1]
	v_pk_fma_f32 v[10:11], v[6:7], s[2:3], v[10:11] op_sel_hi:[1,0,1] neg_lo:[1,0,1] neg_hi:[1,0,1]
	v_pk_add_f32 v[4:5], v[4:5], v[30:31]
	v_pk_fma_f32 v[10:11], v[16:17], s[0:1], v[10:11] op_sel_hi:[1,0,1]
	v_mov_b32_e32 v21, v33
	v_mov_b32_e32 v27, v23
	v_pk_fma_f32 v[0:1], v[0:1], s[6:7], v[32:33]
	v_pk_add_f32 v[12:13], v[4:5], v[10:11]
	v_pk_add_f32 v[4:5], v[4:5], v[10:11] neg_lo:[0,1] neg_hi:[0,1]
	v_pk_fma_f32 v[2:3], v[2:3], s[4:5], v[20:21] op_sel_hi:[1,0,1] neg_lo:[0,0,1] neg_hi:[0,0,1]
	v_pk_fma_f32 v[6:7], v[6:7], s[2:3], v[26:27] op_sel_hi:[1,0,1] neg_lo:[0,0,1] neg_hi:[0,0,1]
	v_pk_add_f32 v[0:1], v[0:1], v[30:31]
	v_pk_fma_f32 v[18:19], v[16:17], s[0:1], v[18:19] op_sel_hi:[1,0,1]
	v_mov_b32_e32 v10, v12
	v_mov_b32_e32 v11, v5
	v_pk_add_f32 v[2:3], v[2:3], v[30:31]
	v_pk_fma_f32 v[6:7], v[16:17], s[0:1], v[6:7] op_sel_hi:[1,0,1]
	v_pk_add_f32 v[34:35], v[0:1], v[18:19]
	v_pk_add_f32 v[0:1], v[0:1], v[18:19] neg_lo:[0,1] neg_hi:[0,1]
	global_store_dwordx2 v[8:9], v[10:11], off offset:1040
	v_pk_add_f32 v[10:11], v[2:3], v[6:7] neg_lo:[0,1] neg_hi:[0,1]
	v_pk_add_f32 v[2:3], v[2:3], v[6:7]
	v_mov_b32_e32 v18, v34
	v_mov_b32_e32 v19, v1
	;; [unrolled: 1-line block ×7, first 2 shown]
	global_store_dwordx2 v[8:9], v[28:29], off
	global_store_dwordx2 v[8:9], v[18:19], off offset:520
	global_store_dwordx2 v[8:9], v[6:7], off offset:1560
	global_store_dwordx2 v[8:9], v[2:3], off offset:2080
	global_store_dwordx2 v[8:9], v[4:5], off offset:2600
	global_store_dwordx2 v[8:9], v[0:1], off offset:3120
.LBB0_20:
	s_endpgm
	.section	.rodata,"a",@progbits
	.p2align	6, 0x0
	.amdhsa_kernel fft_rtc_fwd_len455_factors_13_5_7_wgs_195_tpt_65_sp_op_CI_CI_unitstride_sbrr_dirReg
		.amdhsa_group_segment_fixed_size 0
		.amdhsa_private_segment_fixed_size 0
		.amdhsa_kernarg_size 104
		.amdhsa_user_sgpr_count 2
		.amdhsa_user_sgpr_dispatch_ptr 0
		.amdhsa_user_sgpr_queue_ptr 0
		.amdhsa_user_sgpr_kernarg_segment_ptr 1
		.amdhsa_user_sgpr_dispatch_id 0
		.amdhsa_user_sgpr_kernarg_preload_length 0
		.amdhsa_user_sgpr_kernarg_preload_offset 0
		.amdhsa_user_sgpr_private_segment_size 0
		.amdhsa_uses_dynamic_stack 0
		.amdhsa_enable_private_segment 0
		.amdhsa_system_sgpr_workgroup_id_x 1
		.amdhsa_system_sgpr_workgroup_id_y 0
		.amdhsa_system_sgpr_workgroup_id_z 0
		.amdhsa_system_sgpr_workgroup_info 0
		.amdhsa_system_vgpr_workitem_id 0
		.amdhsa_next_free_vgpr 128
		.amdhsa_next_free_sgpr 40
		.amdhsa_accum_offset 128
		.amdhsa_reserve_vcc 1
		.amdhsa_float_round_mode_32 0
		.amdhsa_float_round_mode_16_64 0
		.amdhsa_float_denorm_mode_32 3
		.amdhsa_float_denorm_mode_16_64 3
		.amdhsa_dx10_clamp 1
		.amdhsa_ieee_mode 1
		.amdhsa_fp16_overflow 0
		.amdhsa_tg_split 0
		.amdhsa_exception_fp_ieee_invalid_op 0
		.amdhsa_exception_fp_denorm_src 0
		.amdhsa_exception_fp_ieee_div_zero 0
		.amdhsa_exception_fp_ieee_overflow 0
		.amdhsa_exception_fp_ieee_underflow 0
		.amdhsa_exception_fp_ieee_inexact 0
		.amdhsa_exception_int_div_zero 0
	.end_amdhsa_kernel
	.text
.Lfunc_end0:
	.size	fft_rtc_fwd_len455_factors_13_5_7_wgs_195_tpt_65_sp_op_CI_CI_unitstride_sbrr_dirReg, .Lfunc_end0-fft_rtc_fwd_len455_factors_13_5_7_wgs_195_tpt_65_sp_op_CI_CI_unitstride_sbrr_dirReg
                                        ; -- End function
	.section	.AMDGPU.csdata,"",@progbits
; Kernel info:
; codeLenInByte = 6264
; NumSgprs: 46
; NumVgprs: 128
; NumAgprs: 0
; TotalNumVgprs: 128
; ScratchSize: 0
; MemoryBound: 0
; FloatMode: 240
; IeeeMode: 1
; LDSByteSize: 0 bytes/workgroup (compile time only)
; SGPRBlocks: 5
; VGPRBlocks: 15
; NumSGPRsForWavesPerEU: 46
; NumVGPRsForWavesPerEU: 128
; AccumOffset: 128
; Occupancy: 4
; WaveLimiterHint : 1
; COMPUTE_PGM_RSRC2:SCRATCH_EN: 0
; COMPUTE_PGM_RSRC2:USER_SGPR: 2
; COMPUTE_PGM_RSRC2:TRAP_HANDLER: 0
; COMPUTE_PGM_RSRC2:TGID_X_EN: 1
; COMPUTE_PGM_RSRC2:TGID_Y_EN: 0
; COMPUTE_PGM_RSRC2:TGID_Z_EN: 0
; COMPUTE_PGM_RSRC2:TIDIG_COMP_CNT: 0
; COMPUTE_PGM_RSRC3_GFX90A:ACCUM_OFFSET: 31
; COMPUTE_PGM_RSRC3_GFX90A:TG_SPLIT: 0
	.text
	.p2alignl 6, 3212836864
	.fill 256, 4, 3212836864
	.type	__hip_cuid_c1442a7770557a09,@object ; @__hip_cuid_c1442a7770557a09
	.section	.bss,"aw",@nobits
	.globl	__hip_cuid_c1442a7770557a09
__hip_cuid_c1442a7770557a09:
	.byte	0                               ; 0x0
	.size	__hip_cuid_c1442a7770557a09, 1

	.ident	"AMD clang version 19.0.0git (https://github.com/RadeonOpenCompute/llvm-project roc-6.4.0 25133 c7fe45cf4b819c5991fe208aaa96edf142730f1d)"
	.section	".note.GNU-stack","",@progbits
	.addrsig
	.addrsig_sym __hip_cuid_c1442a7770557a09
	.amdgpu_metadata
---
amdhsa.kernels:
  - .agpr_count:     0
    .args:
      - .actual_access:  read_only
        .address_space:  global
        .offset:         0
        .size:           8
        .value_kind:     global_buffer
      - .offset:         8
        .size:           8
        .value_kind:     by_value
      - .actual_access:  read_only
        .address_space:  global
        .offset:         16
        .size:           8
        .value_kind:     global_buffer
      - .actual_access:  read_only
        .address_space:  global
        .offset:         24
        .size:           8
        .value_kind:     global_buffer
      - .actual_access:  read_only
        .address_space:  global
        .offset:         32
        .size:           8
        .value_kind:     global_buffer
      - .offset:         40
        .size:           8
        .value_kind:     by_value
      - .actual_access:  read_only
        .address_space:  global
        .offset:         48
        .size:           8
        .value_kind:     global_buffer
      - .actual_access:  read_only
        .address_space:  global
        .offset:         56
        .size:           8
        .value_kind:     global_buffer
      - .offset:         64
        .size:           4
        .value_kind:     by_value
      - .actual_access:  read_only
        .address_space:  global
        .offset:         72
        .size:           8
        .value_kind:     global_buffer
      - .actual_access:  read_only
        .address_space:  global
        .offset:         80
        .size:           8
        .value_kind:     global_buffer
      - .actual_access:  read_only
        .address_space:  global
        .offset:         88
        .size:           8
        .value_kind:     global_buffer
      - .actual_access:  write_only
        .address_space:  global
        .offset:         96
        .size:           8
        .value_kind:     global_buffer
    .group_segment_fixed_size: 0
    .kernarg_segment_align: 8
    .kernarg_segment_size: 104
    .language:       OpenCL C
    .language_version:
      - 2
      - 0
    .max_flat_workgroup_size: 195
    .name:           fft_rtc_fwd_len455_factors_13_5_7_wgs_195_tpt_65_sp_op_CI_CI_unitstride_sbrr_dirReg
    .private_segment_fixed_size: 0
    .sgpr_count:     46
    .sgpr_spill_count: 0
    .symbol:         fft_rtc_fwd_len455_factors_13_5_7_wgs_195_tpt_65_sp_op_CI_CI_unitstride_sbrr_dirReg.kd
    .uniform_work_group_size: 1
    .uses_dynamic_stack: false
    .vgpr_count:     128
    .vgpr_spill_count: 0
    .wavefront_size: 64
amdhsa.target:   amdgcn-amd-amdhsa--gfx950
amdhsa.version:
  - 1
  - 2
...

	.end_amdgpu_metadata
